;; amdgpu-corpus repo=ROCm/rocFFT kind=compiled arch=gfx906 opt=O3
	.text
	.amdgcn_target "amdgcn-amd-amdhsa--gfx906"
	.amdhsa_code_object_version 6
	.protected	fft_rtc_back_len128_factors_16_8_wgs_256_tpt_16_dp_op_CI_CI_sbcc_twdbase6_3step_dirReg_intrinsicReadWrite ; -- Begin function fft_rtc_back_len128_factors_16_8_wgs_256_tpt_16_dp_op_CI_CI_sbcc_twdbase6_3step_dirReg_intrinsicReadWrite
	.globl	fft_rtc_back_len128_factors_16_8_wgs_256_tpt_16_dp_op_CI_CI_sbcc_twdbase6_3step_dirReg_intrinsicReadWrite
	.p2align	8
	.type	fft_rtc_back_len128_factors_16_8_wgs_256_tpt_16_dp_op_CI_CI_sbcc_twdbase6_3step_dirReg_intrinsicReadWrite,@function
fft_rtc_back_len128_factors_16_8_wgs_256_tpt_16_dp_op_CI_CI_sbcc_twdbase6_3step_dirReg_intrinsicReadWrite: ; @fft_rtc_back_len128_factors_16_8_wgs_256_tpt_16_dp_op_CI_CI_sbcc_twdbase6_3step_dirReg_intrinsicReadWrite
; %bb.0:
	s_load_dwordx8 s[8:15], s[4:5], 0x8
	s_load_dwordx2 s[2:3], s[4:5], 0x28
	s_movk_i32 s0, 0xc0
	v_cmp_gt_u32_e32 vcc, s0, v0
	s_and_saveexec_b64 s[0:1], vcc
	s_cbranch_execz .LBB0_2
; %bb.1:
	v_lshlrev_b32_e32 v5, 4, v0
	s_waitcnt lgkmcnt(0)
	global_load_dwordx4 v[1:4], v5, s[8:9]
	v_add_u32_e32 v5, 0, v5
	v_add_u32_e32 v5, 0x8000, v5
	s_waitcnt vmcnt(0)
	ds_write2_b64 v5, v[1:2], v[3:4] offset1:1
.LBB0_2:
	s_or_b64 exec, exec, s[0:1]
	s_waitcnt lgkmcnt(0)
	s_load_dwordx2 s[8:9], s[12:13], 0x8
	s_mov_b32 s7, 0
	s_mov_b64 s[30:31], 0
	s_waitcnt lgkmcnt(0)
	s_add_u32 s0, s8, -1
	s_addc_u32 s1, s9, -1
	s_lshr_b64 s[0:1], s[0:1], 4
	s_add_u32 s34, s0, 1
	s_addc_u32 s35, s1, 0
	v_mov_b32_e32 v1, s34
	v_mov_b32_e32 v2, s35
	v_cmp_lt_u64_e32 vcc, s[6:7], v[1:2]
	s_cbranch_vccnz .LBB0_4
; %bb.3:
	v_cvt_f32_u32_e32 v1, s34
	s_sub_i32 s0, 0, s34
	s_mov_b32 s31, s7
	v_rcp_iflag_f32_e32 v1, v1
	v_mul_f32_e32 v1, 0x4f7ffffe, v1
	v_cvt_u32_f32_e32 v1, v1
	v_readfirstlane_b32 s1, v1
	s_mul_i32 s0, s0, s1
	s_mul_hi_u32 s0, s1, s0
	s_add_i32 s1, s1, s0
	s_mul_hi_u32 s0, s6, s1
	s_mul_i32 s16, s0, s34
	s_sub_i32 s16, s6, s16
	s_add_i32 s1, s0, 1
	s_sub_i32 s17, s16, s34
	s_cmp_ge_u32 s16, s34
	s_cselect_b32 s0, s1, s0
	s_cselect_b32 s16, s17, s16
	s_add_i32 s1, s0, 1
	s_cmp_ge_u32 s16, s34
	s_cselect_b32 s30, s1, s0
.LBB0_4:
	s_load_dwordx4 s[20:23], s[4:5], 0x60
	s_load_dwordx2 s[28:29], s[4:5], 0x0
	s_load_dwordx4 s[24:27], s[14:15], 0x0
	s_mul_i32 s0, s30, s35
	s_mul_hi_u32 s1, s30, s34
	s_add_i32 s1, s1, s0
	s_mul_i32 s0, s30, s34
	s_sub_u32 s0, s6, s0
	s_subb_u32 s1, 0, s1
	v_mov_b32_e32 v1, s0
	s_load_dwordx4 s[16:19], s[2:3], 0x0
	v_alignbit_b32 v1, s1, v1, 28
	s_waitcnt lgkmcnt(0)
	v_mul_lo_u32 v2, s26, v1
	s_lshl_b64 s[4:5], s[0:1], 4
	s_mul_hi_u32 s0, s26, s4
	v_mul_lo_u32 v1, s18, v1
	v_add_u32_e32 v2, s0, v2
	s_mul_i32 s0, s27, s4
	v_add_u32_e32 v4, s0, v2
	s_mul_i32 s0, s26, s4
	v_mov_b32_e32 v3, s0
	s_mul_hi_u32 s0, s18, s4
	v_add_u32_e32 v1, s0, v1
	s_mul_i32 s0, s19, s4
	v_add_u32_e32 v5, s0, v1
	v_cmp_lt_u64_e64 s[0:1], s[10:11], 3
	s_mul_i32 s17, s18, s4
	v_mov_b32_e32 v71, s17
	s_and_b64 vcc, exec, s[0:1]
	s_cbranch_vccnz .LBB0_13
; %bb.5:
	s_add_u32 s36, s2, 16
	s_addc_u32 s37, s3, 0
	s_add_u32 s38, s14, 16
	s_addc_u32 s39, s15, 0
	s_add_u32 s12, s12, 16
	v_mov_b32_e32 v1, s10
	s_addc_u32 s13, s13, 0
	s_mov_b64 s[40:41], 2
	s_mov_b32 s42, 0
	v_mov_b32_e32 v2, s11
	s_branch .LBB0_7
.LBB0_6:                                ;   in Loop: Header=BB0_7 Depth=1
	s_mul_i32 s17, s44, s35
	s_mul_hi_u32 s19, s44, s34
	s_add_i32 s17, s19, s17
	s_mul_i32 s19, s45, s34
	s_add_i32 s35, s17, s19
	s_mul_i32 s17, s0, s45
	s_mul_hi_u32 s19, s0, s44
	s_add_i32 s17, s19, s17
	s_mul_i32 s19, s1, s44
	s_load_dwordx2 s[46:47], s[38:39], 0x0
	s_add_i32 s17, s17, s19
	s_mul_i32 s19, s0, s44
	s_sub_u32 s19, s30, s19
	s_subb_u32 s17, s31, s17
	s_load_dwordx2 s[30:31], s[36:37], 0x0
	s_waitcnt lgkmcnt(0)
	s_mul_i32 s25, s46, s17
	s_mul_hi_u32 s27, s46, s19
	s_add_i32 s25, s27, s25
	s_mul_i32 s27, s47, s19
	s_add_i32 s25, s25, s27
	v_mov_b32_e32 v6, s25
	s_mul_i32 s17, s30, s17
	s_mul_hi_u32 s25, s30, s19
	s_add_i32 s17, s25, s17
	s_mul_i32 s25, s31, s19
	s_add_i32 s17, s17, s25
	s_mul_i32 s27, s46, s19
	s_add_u32 s40, s40, 1
	v_add_co_u32_e32 v3, vcc, s27, v3
	s_addc_u32 s41, s41, 0
	v_addc_co_u32_e32 v4, vcc, v6, v4, vcc
	s_mul_i32 s19, s30, s19
	s_add_u32 s36, s36, 8
	v_mov_b32_e32 v6, s17
	v_add_co_u32_e32 v71, vcc, s19, v71
	s_addc_u32 s37, s37, 0
	v_addc_co_u32_e32 v5, vcc, v6, v5, vcc
	s_add_u32 s38, s38, 8
	s_addc_u32 s39, s39, 0
	v_cmp_ge_u64_e32 vcc, s[40:41], v[1:2]
	s_add_u32 s12, s12, 8
	s_mul_i32 s34, s44, s34
	s_addc_u32 s13, s13, 0
	s_mov_b64 s[30:31], s[0:1]
	s_cbranch_vccnz .LBB0_11
.LBB0_7:                                ; =>This Inner Loop Header: Depth=1
	s_load_dwordx2 s[44:45], s[12:13], 0x0
	s_waitcnt lgkmcnt(0)
	s_or_b64 s[0:1], s[30:31], s[44:45]
	s_mov_b32 s43, s1
	s_cmp_lg_u64 s[42:43], 0
	s_cbranch_scc0 .LBB0_9
; %bb.8:                                ;   in Loop: Header=BB0_7 Depth=1
	v_cvt_f32_u32_e32 v6, s44
	v_cvt_f32_u32_e32 v7, s45
	s_sub_u32 s0, 0, s44
	s_subb_u32 s1, 0, s45
	v_mac_f32_e32 v6, 0x4f800000, v7
	v_rcp_f32_e32 v6, v6
	v_mul_f32_e32 v6, 0x5f7ffffc, v6
	v_mul_f32_e32 v7, 0x2f800000, v6
	v_trunc_f32_e32 v7, v7
	v_mac_f32_e32 v6, 0xcf800000, v7
	v_cvt_u32_f32_e32 v7, v7
	v_cvt_u32_f32_e32 v6, v6
	v_readfirstlane_b32 s17, v7
	v_readfirstlane_b32 s19, v6
	s_mul_i32 s25, s0, s17
	s_mul_hi_u32 s33, s0, s19
	s_mul_i32 s27, s1, s19
	s_add_i32 s25, s33, s25
	s_mul_i32 s43, s0, s19
	s_add_i32 s25, s25, s27
	s_mul_hi_u32 s27, s19, s25
	s_mul_i32 s33, s19, s25
	s_mul_hi_u32 s19, s19, s43
	s_add_u32 s19, s19, s33
	s_addc_u32 s27, 0, s27
	s_mul_hi_u32 s46, s17, s43
	s_mul_i32 s43, s17, s43
	s_add_u32 s19, s19, s43
	s_mul_hi_u32 s33, s17, s25
	s_addc_u32 s19, s27, s46
	s_addc_u32 s27, s33, 0
	s_mul_i32 s25, s17, s25
	s_add_u32 s19, s19, s25
	s_addc_u32 s25, 0, s27
	v_add_co_u32_e32 v6, vcc, s19, v6
	s_cmp_lg_u64 vcc, 0
	s_addc_u32 s17, s17, s25
	v_readfirstlane_b32 s25, v6
	s_mul_i32 s19, s0, s17
	s_mul_hi_u32 s27, s0, s25
	s_add_i32 s19, s27, s19
	s_mul_i32 s1, s1, s25
	s_add_i32 s19, s19, s1
	s_mul_i32 s0, s0, s25
	s_mul_hi_u32 s27, s17, s0
	s_mul_i32 s33, s17, s0
	s_mul_i32 s46, s25, s19
	s_mul_hi_u32 s0, s25, s0
	s_mul_hi_u32 s43, s25, s19
	s_add_u32 s0, s0, s46
	s_addc_u32 s25, 0, s43
	s_add_u32 s0, s0, s33
	s_mul_hi_u32 s1, s17, s19
	s_addc_u32 s0, s25, s27
	s_addc_u32 s1, s1, 0
	s_mul_i32 s19, s17, s19
	s_add_u32 s0, s0, s19
	s_addc_u32 s1, 0, s1
	v_add_co_u32_e32 v6, vcc, s0, v6
	s_cmp_lg_u64 vcc, 0
	s_addc_u32 s0, s17, s1
	v_readfirstlane_b32 s19, v6
	s_mul_i32 s17, s30, s0
	s_mul_hi_u32 s25, s30, s19
	s_mul_hi_u32 s1, s30, s0
	s_add_u32 s17, s25, s17
	s_addc_u32 s1, 0, s1
	s_mul_hi_u32 s27, s31, s19
	s_mul_i32 s19, s31, s19
	s_add_u32 s17, s17, s19
	s_mul_hi_u32 s25, s31, s0
	s_addc_u32 s1, s1, s27
	s_addc_u32 s17, s25, 0
	s_mul_i32 s0, s31, s0
	s_add_u32 s19, s1, s0
	s_addc_u32 s17, 0, s17
	s_mul_i32 s0, s44, s17
	s_mul_hi_u32 s1, s44, s19
	s_add_i32 s0, s1, s0
	s_mul_i32 s1, s45, s19
	s_add_i32 s25, s0, s1
	s_mul_i32 s1, s44, s19
	v_mov_b32_e32 v6, s1
	s_sub_i32 s0, s31, s25
	v_sub_co_u32_e32 v6, vcc, s30, v6
	s_cmp_lg_u64 vcc, 0
	s_subb_u32 s27, s0, s45
	v_subrev_co_u32_e64 v7, s[0:1], s44, v6
	s_cmp_lg_u64 s[0:1], 0
	s_subb_u32 s0, s27, 0
	s_cmp_ge_u32 s0, s45
	v_readfirstlane_b32 s27, v7
	s_cselect_b32 s1, -1, 0
	s_cmp_ge_u32 s27, s44
	s_cselect_b32 s27, -1, 0
	s_cmp_eq_u32 s0, s45
	s_cselect_b32 s0, s27, s1
	s_add_u32 s1, s19, 1
	s_addc_u32 s27, s17, 0
	s_add_u32 s33, s19, 2
	s_addc_u32 s43, s17, 0
	s_cmp_lg_u32 s0, 0
	s_cselect_b32 s0, s33, s1
	s_cselect_b32 s1, s43, s27
	s_cmp_lg_u64 vcc, 0
	s_subb_u32 s25, s31, s25
	s_cmp_ge_u32 s25, s45
	v_readfirstlane_b32 s33, v6
	s_cselect_b32 s27, -1, 0
	s_cmp_ge_u32 s33, s44
	s_cselect_b32 s33, -1, 0
	s_cmp_eq_u32 s25, s45
	s_cselect_b32 s25, s33, s27
	s_cmp_lg_u32 s25, 0
	s_cselect_b32 s1, s1, s17
	s_cselect_b32 s0, s0, s19
	s_cbranch_execnz .LBB0_6
	s_branch .LBB0_10
.LBB0_9:                                ;   in Loop: Header=BB0_7 Depth=1
                                        ; implicit-def: $sgpr0_sgpr1
.LBB0_10:                               ;   in Loop: Header=BB0_7 Depth=1
	v_cvt_f32_u32_e32 v6, s44
	s_sub_i32 s0, 0, s44
	v_rcp_iflag_f32_e32 v6, v6
	v_mul_f32_e32 v6, 0x4f7ffffe, v6
	v_cvt_u32_f32_e32 v6, v6
	v_readfirstlane_b32 s1, v6
	s_mul_i32 s0, s0, s1
	s_mul_hi_u32 s0, s1, s0
	s_add_i32 s1, s1, s0
	s_mul_hi_u32 s0, s30, s1
	s_mul_i32 s17, s0, s44
	s_sub_i32 s17, s30, s17
	s_add_i32 s1, s0, 1
	s_sub_i32 s19, s17, s44
	s_cmp_ge_u32 s17, s44
	s_cselect_b32 s0, s1, s0
	s_cselect_b32 s17, s19, s17
	s_add_i32 s1, s0, 1
	s_cmp_ge_u32 s17, s44
	s_cselect_b32 s0, s1, s0
	s_mov_b32 s1, s42
	s_branch .LBB0_6
.LBB0_11:
	v_mov_b32_e32 v1, s34
	v_mov_b32_e32 v2, s35
	v_cmp_lt_u64_e32 vcc, s[6:7], v[1:2]
	s_mov_b64 s[30:31], 0
	s_cbranch_vccnz .LBB0_13
; %bb.12:
	v_cvt_f32_u32_e32 v1, s34
	s_sub_i32 s0, 0, s34
	v_rcp_iflag_f32_e32 v1, v1
	v_mul_f32_e32 v1, 0x4f7ffffe, v1
	v_cvt_u32_f32_e32 v1, v1
	v_readfirstlane_b32 s1, v1
	s_mul_i32 s0, s0, s1
	s_mul_hi_u32 s0, s1, s0
	s_add_i32 s1, s1, s0
	s_mul_hi_u32 s0, s6, s1
	s_mul_i32 s7, s0, s34
	s_sub_i32 s6, s6, s7
	s_add_i32 s1, s0, 1
	s_sub_i32 s7, s6, s34
	s_cmp_ge_u32 s6, s34
	s_cselect_b32 s0, s1, s0
	s_cselect_b32 s6, s7, s6
	s_add_i32 s1, s0, 1
	s_cmp_ge_u32 s6, s34
	s_cselect_b32 s30, s1, s0
.LBB0_13:
	s_lshl_b64 s[0:1], s[10:11], 3
	s_add_u32 s6, s14, s0
	s_addc_u32 s7, s15, s1
	s_load_dword s10, s[6:7], 0x0
	s_add_u32 s6, s2, s0
	s_addc_u32 s7, s3, s1
	s_add_u32 s0, s4, 16
	v_mov_b32_e32 v1, s8
	s_addc_u32 s1, s5, 0
	v_mov_b32_e32 v2, s9
	v_and_b32_e32 v67, 15, v0
	v_cmp_le_u64_e32 vcc, s[0:1], v[1:2]
	s_movk_i32 s0, 0x80
	s_movk_i32 s1, 0x7f
	v_or_b32_e32 v64, s4, v67
	v_mov_b32_e32 v65, s5
	v_cmp_lt_u32_e64 s[2:3], s1, v0
	v_cmp_gt_u32_e64 s[0:1], s0, v0
	v_lshrrev_b32_e32 v66, 4, v0
	v_cndmask_b32_e64 v0, 0, 1, s[0:1]
	v_cmp_gt_u64_e64 s[0:1], s[8:9], v[64:65]
	s_or_b64 s[4:5], s[2:3], vcc
	v_cndmask_b32_e64 v2, 0, 1, s[0:1]
	v_cndmask_b32_e64 v0, v2, v0, s[4:5]
	v_and_b32_e32 v0, 1, v0
	v_cmp_eq_u32_e64 s[4:5], 1, v0
	v_add_u32_e32 v0, 8, v66
	v_mul_lo_u32 v52, s26, v67
	v_mul_lo_u32 v0, s24, v0
	;; [unrolled: 1-line block ×3, first 2 shown]
	v_or_b32_e32 v65, 16, v66
	s_waitcnt lgkmcnt(0)
	s_mul_i32 s10, s10, s30
	v_add_lshl_u32 v0, v52, v0, 4
	v_cndmask_b32_e64 v9, -1, v0, s[4:5]
	v_mul_lo_u32 v10, s24, v65
	v_add_u32_e32 v0, 24, v66
	v_add_u32_e32 v3, s10, v3
	v_mul_lo_u32 v11, s24, v0
	v_add_lshl_u32 v1, v52, v1, 4
	v_lshlrev_b32_e32 v2, 4, v3
	v_cndmask_b32_e64 v8, -1, v1, s[4:5]
	s_mov_b32 s11, 0x20000
	s_mov_b32 s10, -2
	s_mov_b32 s8, s20
	s_mov_b32 s9, s21
	v_readfirstlane_b32 s12, v2
	s_nop 4
	buffer_load_dwordx4 v[0:3], v8, s[8:11], s12 offen
	buffer_load_dwordx4 v[4:7], v9, s[8:11], s12 offen
	v_add_lshl_u32 v8, v52, v10, 4
	v_cndmask_b32_e64 v16, -1, v8, s[4:5]
	v_add_lshl_u32 v8, v52, v11, 4
	v_or_b32_e32 v68, 32, v66
	v_cndmask_b32_e64 v17, -1, v8, s[4:5]
	v_mul_lo_u32 v18, s24, v68
	v_add_u32_e32 v8, 40, v66
	v_mul_lo_u32 v19, s24, v8
	buffer_load_dwordx4 v[8:11], v16, s[8:11], s12 offen
	buffer_load_dwordx4 v[12:15], v17, s[8:11], s12 offen
	v_add_lshl_u32 v16, v52, v18, 4
	v_cndmask_b32_e64 v24, -1, v16, s[4:5]
	v_add_lshl_u32 v16, v52, v19, 4
	v_or_b32_e32 v69, 48, v66
	v_cndmask_b32_e64 v25, -1, v16, s[4:5]
	v_mul_lo_u32 v26, s24, v69
	v_add_u32_e32 v16, 56, v66
	v_mul_lo_u32 v27, s24, v16
	;; [unrolled: 10-line block ×3, first 2 shown]
	buffer_load_dwordx4 v[24:27], v32, s[8:11], s12 offen
	buffer_load_dwordx4 v[28:31], v33, s[8:11], s12 offen
	v_add_lshl_u32 v32, v52, v34, 4
	v_cndmask_b32_e64 v36, -1, v32, s[4:5]
	v_add_lshl_u32 v32, v52, v35, 4
	v_cndmask_b32_e64 v37, -1, v32, s[4:5]
	v_or_b32_e32 v32, 0x50, v66
	v_mul_lo_u32 v38, s24, v32
	v_add_u32_e32 v32, 0x58, v66
	v_mul_lo_u32 v39, s24, v32
	buffer_load_dwordx4 v[32:35], v36, s[8:11], s12 offen
	buffer_load_dwordx4 v[40:43], v37, s[8:11], s12 offen
	v_add_lshl_u32 v36, v52, v38, 4
	v_or_b32_e32 v38, 0x60, v66
	v_add_lshl_u32 v37, v52, v39, 4
	v_mul_lo_u32 v38, s24, v38
	v_add_u32_e32 v39, 0x68, v66
	v_mul_lo_u32 v39, s24, v39
	v_cndmask_b32_e64 v36, -1, v36, s[4:5]
	v_cndmask_b32_e64 v37, -1, v37, s[4:5]
	buffer_load_dwordx4 v[44:47], v36, s[8:11], s12 offen
	buffer_load_dwordx4 v[56:59], v37, s[8:11], s12 offen
	v_add_lshl_u32 v36, v52, v38, 4
	v_cndmask_b32_e64 v53, -1, v36, s[4:5]
	v_add_lshl_u32 v36, v52, v39, 4
	v_cndmask_b32_e64 v54, -1, v36, s[4:5]
	v_or_b32_e32 v36, 0x70, v66
	v_mul_lo_u32 v55, s24, v36
	v_add_u32_e32 v36, 0x78, v66
	v_mul_lo_u32 v60, s24, v36
	buffer_load_dwordx4 v[36:39], v53, s[8:11], s12 offen
	buffer_load_dwordx4 v[48:51], v54, s[8:11], s12 offen
	v_add_lshl_u32 v53, v52, v55, 4
	v_cndmask_b32_e64 v72, -1, v53, s[4:5]
	v_add_lshl_u32 v52, v52, v60, 4
	v_cndmask_b32_e64 v73, -1, v52, s[4:5]
	buffer_load_dwordx4 v[52:55], v72, s[8:11], s12 offen
	buffer_load_dwordx4 v[60:63], v73, s[8:11], s12 offen
	s_load_dwordx2 s[4:5], s[6:7], 0x0
	v_lshlrev_b32_e32 v72, 8, v66
	s_and_saveexec_b64 s[6:7], s[2:3]
	s_xor_b64 s[2:3], exec, s[6:7]
; %bb.14:
	v_lshlrev_b32_e32 v72, 8, v66
                                        ; implicit-def: $vgpr0_vgpr1_vgpr2_vgpr3
                                        ; implicit-def: $vgpr4_vgpr5_vgpr6_vgpr7
                                        ; implicit-def: $vgpr8_vgpr9_vgpr10_vgpr11
                                        ; implicit-def: $vgpr12_vgpr13_vgpr14_vgpr15
                                        ; implicit-def: $vgpr16_vgpr17_vgpr18_vgpr19
                                        ; implicit-def: $vgpr20_vgpr21_vgpr22_vgpr23
                                        ; implicit-def: $vgpr24_vgpr25_vgpr26_vgpr27
                                        ; implicit-def: $vgpr28_vgpr29_vgpr30_vgpr31
                                        ; implicit-def: $vgpr32_vgpr33_vgpr34_vgpr35
                                        ; implicit-def: $vgpr40_vgpr41_vgpr42_vgpr43
                                        ; implicit-def: $vgpr44_vgpr45_vgpr46_vgpr47
                                        ; implicit-def: $vgpr56_vgpr57_vgpr58_vgpr59
                                        ; implicit-def: $vgpr36_vgpr37_vgpr38_vgpr39
                                        ; implicit-def: $vgpr48_vgpr49_vgpr50_vgpr51
                                        ; implicit-def: $vgpr52_vgpr53_vgpr54_vgpr55
                                        ; implicit-def: $vgpr60_vgpr61_vgpr62_vgpr63
; %bb.15:
	s_or_saveexec_b64 s[2:3], s[2:3]
	v_lshlrev_b32_e32 v73, 4, v67
	s_xor_b64 exec, exec, s[2:3]
	s_cbranch_execz .LBB0_17
; %bb.16:
	s_waitcnt vmcnt(7)
	v_add_f64 v[34:35], v[2:3], -v[34:35]
	s_waitcnt vmcnt(3)
	v_add_f64 v[36:37], v[16:17], -v[36:37]
	v_add_f64 v[58:59], v[14:15], -v[58:59]
	;; [unrolled: 1-line block ×3, first 2 shown]
	s_waitcnt vmcnt(0)
	v_add_f64 v[60:61], v[28:29], -v[60:61]
	v_add_f64 v[62:63], v[30:31], -v[62:63]
	v_add_f64 v[42:43], v[6:7], -v[42:43]
	v_add_f64 v[46:47], v[10:11], -v[46:47]
	v_add_f64 v[52:53], v[24:25], -v[52:53]
	v_add_f64 v[40:41], v[4:5], -v[40:41]
	v_add_f64 v[48:49], v[20:21], -v[48:49]
	v_add_f64 v[50:51], v[22:23], -v[50:51]
	v_add_f64 v[44:45], v[8:9], -v[44:45]
	v_add_f64 v[54:55], v[26:27], -v[54:55]
	v_add_f64 v[32:33], v[0:1], -v[32:33]
	v_add_f64 v[38:39], v[18:19], -v[38:39]
	v_add_f64 v[74:75], v[34:35], -v[36:37]
	v_add_f64 v[76:77], v[46:47], -v[52:53]
	v_fma_f64 v[28:29], v[28:29], 2.0, -v[60:61]
	v_fma_f64 v[30:31], v[30:31], 2.0, -v[62:63]
	v_add_f64 v[78:79], v[42:43], -v[48:49]
	v_add_f64 v[60:61], v[58:59], -v[60:61]
	v_add_f64 v[62:63], v[56:57], v[62:63]
	v_add_f64 v[80:81], v[40:41], v[50:51]
	;; [unrolled: 1-line block ×4, first 2 shown]
	s_mov_b32 s6, 0x667f3bcd
	s_mov_b32 s7, 0x3fe6a09e
	v_fma_f64 v[20:21], v[20:21], 2.0, -v[48:49]
	v_fma_f64 v[22:23], v[22:23], 2.0, -v[50:51]
	v_fma_f64 v[48:49], v[76:77], s[6:7], v[74:75]
	v_fma_f64 v[24:25], v[24:25], 2.0, -v[52:53]
	v_fma_f64 v[26:27], v[26:27], 2.0, -v[54:55]
	v_fma_f64 v[50:51], v[60:61], s[6:7], v[78:79]
	v_fma_f64 v[52:53], v[62:63], s[6:7], v[80:81]
	;; [unrolled: 1-line block ×3, first 2 shown]
	s_mov_b32 s9, 0xbfe6a09e
	s_mov_b32 s8, s6
	v_fma_f64 v[16:17], v[16:17], 2.0, -v[36:37]
	v_fma_f64 v[18:19], v[18:19], 2.0, -v[38:39]
	v_fma_f64 v[36:37], v[82:83], s[8:9], v[48:49]
	v_fma_f64 v[38:39], v[62:63], s[8:9], v[50:51]
	;; [unrolled: 1-line block ×4, first 2 shown]
	v_fma_f64 v[52:53], v[6:7], 2.0, -v[42:43]
	v_fma_f64 v[54:55], v[4:5], 2.0, -v[40:41]
	;; [unrolled: 1-line block ×15, first 2 shown]
	v_add_f64 v[20:21], v[54:55], -v[20:21]
	v_add_f64 v[30:31], v[14:15], -v[30:31]
	;; [unrolled: 1-line block ×4, first 2 shown]
	v_fma_f64 v[10:11], v[4:5], s[8:9], v[40:41]
	v_fma_f64 v[46:47], v[6:7], s[8:9], v[32:33]
	v_fma_f64 v[90:91], v[8:9], 2.0, -v[44:45]
	v_add_f64 v[22:23], v[52:53], -v[22:23]
	v_add_f64 v[28:29], v[12:13], -v[28:29]
	v_fma_f64 v[8:9], v[0:1], s[8:9], v[42:43]
	v_fma_f64 v[44:45], v[2:3], s[8:9], v[34:35]
	v_add_f64 v[60:61], v[20:21], v[30:31]
	v_add_f64 v[62:63], v[16:17], v[26:27]
	v_fma_f64 v[82:83], v[0:1], s[6:7], v[10:11]
	v_fma_f64 v[94:95], v[2:3], s[6:7], v[46:47]
	s_mov_b32 s10, 0xcf328d46
	s_mov_b32 s12, 0xa6aea964
	s_mov_b32 s11, 0x3fed906b
	s_mov_b32 s13, 0xbfd87de2
	s_mov_b32 s21, 0x3fd87de2
	s_mov_b32 s20, s12
	v_add_f64 v[18:19], v[86:87], -v[18:19]
	v_add_f64 v[58:59], v[22:23], -v[28:29]
	v_fma_f64 v[76:77], v[4:5], s[8:9], v[8:9]
	v_fma_f64 v[44:45], v[6:7], s[8:9], v[44:45]
	;; [unrolled: 1-line block ×6, first 2 shown]
	v_add_f64 v[24:25], v[90:91], -v[24:25]
	v_fma_f64 v[26:27], v[92:93], 2.0, -v[26:27]
	s_mov_b32 s15, 0xbfed906b
	v_fma_f64 v[10:11], v[76:77], s[20:21], v[44:45]
	v_fma_f64 v[2:3], v[48:49], s[12:13], v[0:1]
	;; [unrolled: 1-line block ×5, first 2 shown]
	v_fma_f64 v[46:47], v[78:79], 2.0, -v[38:39]
	v_fma_f64 v[38:39], v[52:53], 2.0, -v[22:23]
	;; [unrolled: 1-line block ×5, first 2 shown]
	v_add_f64 v[56:57], v[18:19], -v[24:25]
	s_mov_b32 s14, s10
	v_fma_f64 v[10:11], v[82:83], s[14:15], v[10:11]
	v_fma_f64 v[28:29], v[12:13], 2.0, -v[28:29]
	v_fma_f64 v[24:25], v[90:91], 2.0, -v[24:25]
	;; [unrolled: 1-line block ×5, first 2 shown]
	v_add_f64 v[82:83], v[42:43], -v[26:27]
	v_fma_f64 v[26:27], v[88:89], 2.0, -v[16:17]
	v_fma_f64 v[6:7], v[58:59], s[6:7], v[56:57]
	v_fma_f64 v[58:59], v[34:35], 2.0, -v[44:45]
	v_fma_f64 v[74:75], v[74:75], 2.0, -v[36:37]
	;; [unrolled: 1-line block ×4, first 2 shown]
	v_add_f64 v[28:29], v[54:55], -v[28:29]
	v_fma_f64 v[36:37], v[80:81], 2.0, -v[48:49]
	v_add_f64 v[48:49], v[38:39], -v[30:31]
	v_add_f64 v[80:81], v[26:27], -v[24:25]
	v_fma_f64 v[76:77], v[32:33], 2.0, -v[94:95]
	v_fma_f64 v[6:7], v[60:61], s[8:9], v[6:7]
	v_fma_f64 v[32:33], v[20:21], 2.0, -v[60:61]
	v_fma_f64 v[18:19], v[22:23], s[14:15], v[58:59]
	v_fma_f64 v[60:61], v[16:17], 2.0, -v[62:63]
	v_fma_f64 v[84:85], v[84:85], 2.0, -v[50:51]
	;; [unrolled: 1-line block ×3, first 2 shown]
	v_fma_f64 v[24:25], v[52:53], s[8:9], v[78:79]
	v_fma_f64 v[50:51], v[42:43], 2.0, -v[82:83]
	v_fma_f64 v[34:35], v[38:39], 2.0, -v[48:49]
	;; [unrolled: 1-line block ×4, first 2 shown]
	v_fma_f64 v[20:21], v[40:41], s[14:15], v[76:77]
	v_fma_f64 v[18:19], v[40:41], s[12:13], v[18:19]
	;; [unrolled: 1-line block ×6, first 2 shown]
	v_add_f64 v[34:35], v[50:51], -v[34:35]
	v_add_f64 v[32:33], v[86:87], -v[38:39]
	v_fma_f64 v[16:17], v[22:23], s[20:21], v[20:21]
	v_add_f64 v[26:27], v[82:83], -v[28:29]
	v_fma_f64 v[28:29], v[52:53], s[6:7], v[40:41]
	v_fma_f64 v[38:39], v[36:37], s[14:15], v[42:43]
	;; [unrolled: 1-line block ×3, first 2 shown]
	v_add_f64 v[24:25], v[80:81], v[48:49]
	v_fma_f64 v[50:51], v[50:51], 2.0, -v[34:35]
	v_fma_f64 v[48:49], v[86:87], 2.0, -v[32:33]
	;; [unrolled: 1-line block ×14, first 2 shown]
	v_lshlrev_b32_e32 v74, 12, v66
	v_add3_u32 v74, 0, v74, v73
	ds_write_b128 v74, v[48:51]
	ds_write_b128 v74, v[52:55] offset:256
	ds_write_b128 v74, v[56:59] offset:512
	ds_write_b128 v74, v[60:63] offset:768
	ds_write_b128 v74, v[44:47] offset:1024
	ds_write_b128 v74, v[40:43] offset:1280
	ds_write_b128 v74, v[20:23] offset:1536
	ds_write_b128 v74, v[12:15] offset:1792
	ds_write_b128 v74, v[32:35] offset:2048
	ds_write_b128 v74, v[16:19] offset:2304
	ds_write_b128 v74, v[28:31] offset:2560
	ds_write_b128 v74, v[36:39] offset:2816
	ds_write_b128 v74, v[24:27] offset:3072
	ds_write_b128 v74, v[8:11] offset:3328
	ds_write_b128 v74, v[4:7] offset:3584
	ds_write_b128 v74, v[0:3] offset:3840
.LBB0_17:
	s_or_b64 exec, exec, s[2:3]
	s_waitcnt vmcnt(15)
	v_mul_u32_u24_e32 v0, 7, v66
	v_lshlrev_b32_e32 v0, 4, v0
	s_waitcnt vmcnt(0) lgkmcnt(0)
	s_barrier
	global_load_dwordx4 v[1:4], v0, s[28:29]
	global_load_dwordx4 v[5:8], v0, s[28:29] offset:16
	global_load_dwordx4 v[9:12], v0, s[28:29] offset:32
	;; [unrolled: 1-line block ×6, first 2 shown]
	v_mul_lo_u32 v83, v66, v64
	v_lshlrev_b32_e32 v99, 4, v64
	s_add_i32 s6, 0, 0x8000
	s_mul_i32 s4, s4, s30
	v_add_u32_e32 v100, v83, v99
	v_lshrrev_b32_e32 v38, 2, v83
	v_add_u32_e32 v101, v100, v99
	v_and_b32_e32 v38, 0x3f0, v38
	v_lshl_add_u32 v102, v64, 5, v101
	v_and_b32_e32 v37, 63, v83
	v_add_u32_e32 v41, s6, v38
	v_and_b32_e32 v38, 63, v102
	v_add3_u32 v63, 0, v72, v73
	v_lshl_add_u32 v37, v37, 4, 0
	v_lshl_add_u32 v42, v38, 4, 0
	v_add_u32_e32 v0, s4, v71
	ds_read_b128 v[29:32], v63
	ds_read_b128 v[33:36], v63 offset:4096
	ds_read_b64 v[61:62], v37 offset:32768
	ds_read_b128 v[37:40], v42 offset:32768
	ds_read_b64 v[79:80], v42 offset:32776
	ds_read_b128 v[41:44], v41 offset:1024
	ds_read_b128 v[45:48], v63 offset:8192
	;; [unrolled: 1-line block ×7, first 2 shown]
	s_mov_b32 s2, 0x667f3bcd
	s_waitcnt lgkmcnt(6)
	v_mul_f64 v[81:82], v[61:62], v[43:44]
	s_mov_b32 s3, 0xbfe6a09e
	s_mov_b32 s5, 0x3fe6a09e
	v_mul_f64 v[43:44], v[39:40], v[43:44]
	s_mov_b32 s4, s2
	v_lshrrev_b32_e32 v63, 8, v83
	v_and_b32_e32 v63, 0x3f0, v63
	v_and_b32_e32 v83, 63, v100
	v_fma_f64 v[81:82], v[39:40], v[41:42], v[81:82]
	v_add_u32_e32 v39, s6, v63
	v_add_u32_e32 v63, v102, v99
	v_and_b32_e32 v103, 63, v63
	v_fma_f64 v[43:44], v[61:62], v[41:42], -v[43:44]
	v_lshl_add_u32 v61, v83, 4, 0
	ds_read_b128 v[39:42], v39 offset:2048
	ds_read_b64 v[61:62], v61 offset:32768
	v_lshlrev_b32_e32 v0, 4, v0
	s_or_b64 vcc, vcc, s[0:1]
	s_mov_b32 s0, s22
	s_waitcnt lgkmcnt(1)
	v_mul_f64 v[83:84], v[81:82], v[41:42]
	v_mul_f64 v[41:42], v[43:44], v[41:42]
	s_mov_b32 s1, s23
	v_fma_f64 v[43:44], v[39:40], v[43:44], -v[83:84]
	v_fma_f64 v[39:40], v[39:40], v[81:82], v[41:42]
	s_waitcnt vmcnt(6)
	v_mul_f64 v[85:86], v[35:36], v[3:4]
	v_mul_f64 v[3:4], v[33:34], v[3:4]
	s_waitcnt vmcnt(5)
	v_mul_f64 v[87:88], v[47:48], v[7:8]
	v_mul_f64 v[7:8], v[45:46], v[7:8]
	;; [unrolled: 3-line block ×7, first 2 shown]
	v_fma_f64 v[33:34], v[33:34], v[1:2], v[85:86]
	v_fma_f64 v[1:2], v[35:36], v[1:2], -v[3:4]
	v_fma_f64 v[3:4], v[45:46], v[5:6], v[87:88]
	v_fma_f64 v[5:6], v[47:48], v[5:6], -v[7:8]
	;; [unrolled: 2-line block ×7, first 2 shown]
	v_add_f64 v[11:12], v[29:30], -v[11:12]
	v_add_f64 v[13:14], v[31:32], -v[13:14]
	;; [unrolled: 1-line block ×8, first 2 shown]
	v_fma_f64 v[27:28], v[29:30], 2.0, -v[11:12]
	v_fma_f64 v[29:30], v[31:32], 2.0, -v[13:14]
	;; [unrolled: 1-line block ×5, first 2 shown]
	v_add_f64 v[15:16], v[13:14], -v[15:16]
	v_fma_f64 v[7:8], v[7:8], 2.0, -v[19:20]
	v_add_f64 v[19:20], v[17:18], -v[19:20]
	v_fma_f64 v[1:2], v[1:2], 2.0, -v[17:18]
	v_add_f64 v[21:22], v[11:12], v[21:22]
	v_fma_f64 v[9:10], v[9:10], 2.0, -v[25:26]
	v_add_f64 v[25:26], v[23:24], v[25:26]
	v_add_f64 v[5:6], v[29:30], -v[5:6]
	v_fma_f64 v[13:14], v[13:14], 2.0, -v[15:16]
	v_add_f64 v[7:8], v[31:32], -v[7:8]
	v_fma_f64 v[17:18], v[17:18], 2.0, -v[19:20]
	;; [unrolled: 2-line block ×4, first 2 shown]
	v_fma_f64 v[33:34], v[25:26], s[4:5], v[21:22]
	v_fma_f64 v[29:30], v[29:30], 2.0, -v[5:6]
	v_add_f64 v[51:52], v[5:6], -v[7:8]
	v_fma_f64 v[47:48], v[17:18], s[2:3], v[13:14]
	v_fma_f64 v[27:28], v[27:28], 2.0, -v[3:4]
	v_fma_f64 v[35:36], v[19:20], s[4:5], v[15:16]
	v_fma_f64 v[1:2], v[1:2], 2.0, -v[9:10]
	v_fma_f64 v[45:46], v[23:24], s[2:3], v[11:12]
	v_add_f64 v[49:50], v[3:4], v[9:10]
	v_fma_f64 v[53:54], v[19:20], s[4:5], v[33:34]
	v_fma_f64 v[31:32], v[31:32], 2.0, -v[7:8]
	v_fma_f64 v[73:74], v[23:24], s[2:3], v[47:48]
	v_fma_f64 v[47:48], v[5:6], 2.0, -v[51:52]
	v_lshl_add_u32 v5, v103, 4, 0
	v_add_f64 v[59:60], v[29:30], -v[1:2]
	v_fma_f64 v[71:72], v[17:18], s[4:5], v[45:46]
	v_fma_f64 v[45:46], v[3:4], 2.0, -v[49:50]
	ds_read_b128 v[1:4], v5 offset:32768
	ds_read_b64 v[93:94], v5 offset:32776
	v_lshrrev_b32_e32 v5, 2, v100
	v_and_b32_e32 v5, 0x3f0, v5
	v_add_u32_e32 v5, s6, v5
	ds_read_b128 v[5:8], v5 offset:1024
	v_lshrrev_b32_e32 v9, 8, v100
	v_and_b32_e32 v9, 0x3f0, v9
	v_add_u32_e32 v9, s6, v9
	v_fma_f64 v[75:76], v[21:22], 2.0, -v[53:54]
	v_fma_f64 v[89:90], v[11:12], 2.0, -v[71:72]
	ds_read_b128 v[9:12], v9 offset:2048
	s_waitcnt lgkmcnt(1)
	v_mul_f64 v[21:22], v[3:4], v[7:8]
	v_fma_f64 v[55:56], v[25:26], s[2:3], v[35:36]
	v_add_f64 v[57:58], v[27:28], -v[31:32]
	v_mul_lo_u32 v33, v69, v64
	v_fma_f64 v[87:88], v[29:30], 2.0, -v[59:60]
	v_add_u32_e32 v103, v63, v99
	v_lshrrev_b32_e32 v18, 2, v101
	v_lshrrev_b32_e32 v29, 2, v33
	v_fma_f64 v[41:42], v[61:62], v[5:6], -v[21:22]
	v_lshrrev_b32_e32 v21, 8, v101
	v_fma_f64 v[91:92], v[13:14], 2.0, -v[73:74]
	v_and_b32_e32 v13, 63, v101
	v_and_b32_e32 v14, 63, v103
	;; [unrolled: 1-line block ×6, first 2 shown]
	v_lshl_add_u32 v13, v13, 4, 0
	v_lshl_add_u32 v17, v14, 4, 0
	v_add_u32_e32 v18, s6, v18
	v_add_u32_e32 v21, s6, v21
	v_lshl_add_u32 v25, v22, 4, 0
	v_add_u32_e32 v29, s6, v29
	v_fma_f64 v[77:78], v[15:16], 2.0, -v[55:56]
	v_fma_f64 v[85:86], v[27:28], 2.0, -v[57:58]
	ds_read_b64 v[95:96], v13 offset:32768
	ds_read_b128 v[13:16], v17 offset:32768
	ds_read_b64 v[97:98], v17 offset:32776
	ds_read_b128 v[17:20], v18 offset:1024
	v_mul_f64 v[7:8], v[61:62], v[7:8]
	ds_read_b128 v[21:24], v21 offset:2048
	ds_read_b128 v[25:28], v25 offset:32768
	;; [unrolled: 1-line block ×3, first 2 shown]
	v_lshrrev_b32_e32 v33, 8, v33
	s_waitcnt lgkmcnt(3)
	v_mul_f64 v[61:62], v[15:16], v[19:20]
	v_mul_f64 v[19:20], v[95:96], v[19:20]
	;; [unrolled: 1-line block ×3, first 2 shown]
	s_waitcnt lgkmcnt(0)
	v_mul_f64 v[81:82], v[27:28], v[31:32]
	v_fma_f64 v[7:8], v[3:4], v[5:6], v[7:8]
	v_mul_f64 v[31:32], v[25:26], v[31:32]
	v_and_b32_e32 v33, 0x3f0, v33
	v_add_u32_e32 v33, s6, v33
	ds_read_b128 v[33:36], v33 offset:2048
	v_fma_f64 v[19:20], v[15:16], v[17:18], v[19:20]
	v_mul_f64 v[83:84], v[87:88], v[39:40]
	v_fma_f64 v[81:82], v[25:26], v[29:30], -v[81:82]
	v_mul_f64 v[11:12], v[7:8], v[11:12]
	v_lshrrev_b32_e32 v25, 8, v102
	v_and_b32_e32 v25, 0x3f0, v25
	v_add_u32_e32 v25, s6, v25
	v_mul_f64 v[39:40], v[85:86], v[39:40]
	v_fma_f64 v[61:62], v[95:96], v[17:18], -v[61:62]
	v_fma_f64 v[7:8], v[9:10], v[7:8], v[99:100]
	v_fma_f64 v[29:30], v[27:28], v[29:30], v[31:32]
	ds_read_b128 v[25:28], v25 offset:2048
	s_waitcnt lgkmcnt(1)
	v_mul_f64 v[31:32], v[81:82], v[35:36]
	v_lshrrev_b32_e32 v15, 2, v102
	v_fma_f64 v[11:12], v[9:10], v[41:42], -v[11:12]
	v_mul_f64 v[9:10], v[19:20], v[23:24]
	v_and_b32_e32 v15, 0x3f0, v15
	v_add_u32_e32 v15, s6, v15
	ds_read_b128 v[15:18], v15 offset:1024
	v_fma_f64 v[3:4], v[85:86], v[43:44], v[83:84]
	v_fma_f64 v[5:6], v[87:88], v[43:44], -v[39:40]
	v_mul_f64 v[39:40], v[61:62], v[23:24]
	v_mul_f64 v[23:24], v[91:92], v[7:8]
	;; [unrolled: 1-line block ×3, first 2 shown]
	v_fma_f64 v[83:84], v[33:34], v[29:30], v[31:32]
	v_mul_f64 v[29:30], v[89:90], v[7:8]
	v_lshrrev_b32_e32 v7, 2, v63
	v_and_b32_e32 v7, 0x3f0, v7
	v_add_u32_e32 v7, s6, v7
	v_fma_f64 v[31:32], v[21:22], v[61:62], -v[9:10]
	ds_read_b128 v[7:10], v7 offset:1024
	s_waitcnt lgkmcnt(1)
	v_mul_f64 v[43:44], v[79:80], v[17:18]
	v_mul_f64 v[17:18], v[37:38], v[17:18]
	v_fma_f64 v[19:20], v[21:22], v[19:20], v[39:40]
	v_fma_f64 v[61:62], v[33:34], v[81:82], -v[35:36]
	v_mul_f64 v[33:34], v[77:78], v[83:84]
	v_or_b32_e32 v87, 0x70, v66
	v_mul_lo_u32 v88, v87, v64
	v_fma_f64 v[21:22], v[91:92], v[11:12], -v[29:30]
	v_fma_f64 v[85:86], v[37:38], v[15:16], -v[43:44]
	s_waitcnt lgkmcnt(0)
	v_mul_f64 v[43:44], v[93:94], v[9:10]
	v_fma_f64 v[35:36], v[79:80], v[15:16], v[17:18]
	v_mul_f64 v[37:38], v[47:48], v[19:20]
	v_mul_f64 v[39:40], v[45:46], v[19:20]
	v_lshrrev_b32_e32 v15, 8, v63
	v_and_b32_e32 v15, 0x3f0, v15
	v_add_u32_e32 v15, s6, v15
	v_mul_f64 v[41:42], v[85:86], v[27:28]
	v_fma_f64 v[79:80], v[1:2], v[7:8], -v[43:44]
	v_mul_f64 v[1:2], v[1:2], v[9:10]
	v_lshrrev_b32_e32 v9, 2, v103
	v_and_b32_e32 v9, 0x3f0, v9
	v_add_u32_e32 v9, s6, v9
	ds_read_b128 v[15:18], v15 offset:2048
	v_fma_f64 v[19:20], v[89:90], v[11:12], v[23:24]
	v_fma_f64 v[11:12], v[75:76], v[61:62], v[33:34]
	v_mul_f64 v[23:24], v[35:36], v[27:28]
	v_fma_f64 v[27:28], v[25:26], v[35:36], v[41:42]
	ds_read_b128 v[33:36], v9 offset:1024
	v_fma_f64 v[29:30], v[45:46], v[31:32], v[37:38]
	v_lshrrev_b32_e32 v9, 8, v103
	v_lshrrev_b32_e32 v37, 2, v88
	v_and_b32_e32 v9, 0x3f0, v9
	v_and_b32_e32 v10, 63, v88
	;; [unrolled: 1-line block ×3, first 2 shown]
	v_lshl_add_u32 v10, v10, 4, 0
	v_add_u32_e32 v41, s6, v37
	v_add_u32_e32 v9, s6, v9
	v_fma_f64 v[31:32], v[47:48], v[31:32], -v[39:40]
	ds_read_b128 v[37:40], v10 offset:32768
	ds_read_b128 v[41:44], v41 offset:1024
	ds_read_b128 v[45:48], v9 offset:2048
	s_waitcnt lgkmcnt(3)
	v_mul_f64 v[9:10], v[97:98], v[35:36]
	v_mul_f64 v[35:36], v[13:14], v[35:36]
	;; [unrolled: 1-line block ×3, first 2 shown]
	s_waitcnt lgkmcnt(1)
	v_mul_f64 v[63:64], v[39:40], v[43:44]
	v_fma_f64 v[1:2], v[93:94], v[7:8], v[1:2]
	v_mul_f64 v[81:82], v[79:80], v[17:18]
	v_lshrrev_b32_e32 v7, 8, v88
	v_and_b32_e32 v7, 0x3f0, v7
	v_fma_f64 v[83:84], v[13:14], v[33:34], -v[9:10]
	v_fma_f64 v[33:34], v[97:98], v[33:34], v[35:36]
	v_add_u32_e32 v7, s6, v7
	v_fma_f64 v[35:36], v[37:38], v[41:42], -v[63:64]
	v_mul_f64 v[37:38], v[37:38], v[43:44]
	ds_read_b128 v[7:10], v7 offset:2048
	v_fma_f64 v[25:26], v[25:26], v[85:86], -v[23:24]
	v_mul_f64 v[23:24], v[59:60], v[27:28]
	s_waitcnt lgkmcnt(1)
	v_mul_f64 v[43:44], v[83:84], v[47:48]
	v_mul_f64 v[17:18], v[1:2], v[17:18]
	v_fma_f64 v[1:2], v[15:16], v[1:2], v[81:82]
	v_mul_f64 v[27:28], v[57:58], v[27:28]
	v_fma_f64 v[37:38], v[39:40], v[41:42], v[37:38]
	s_waitcnt lgkmcnt(0)
	v_mul_f64 v[39:40], v[35:36], v[9:10]
	v_mul_f64 v[41:42], v[33:34], v[47:48]
	v_fma_f64 v[23:24], v[57:58], v[25:26], v[23:24]
	v_fma_f64 v[33:34], v[45:46], v[33:34], v[43:44]
	v_fma_f64 v[15:16], v[15:16], v[79:80], -v[17:18]
	v_fma_f64 v[13:14], v[77:78], v[61:62], -v[75:76]
	;; [unrolled: 1-line block ×3, first 2 shown]
	v_mul_f64 v[9:10], v[37:38], v[9:10]
	v_fma_f64 v[17:18], v[7:8], v[37:38], v[39:40]
	v_mul_f64 v[37:38], v[73:74], v[1:2]
	v_mul_f64 v[1:2], v[71:72], v[1:2]
	v_fma_f64 v[39:40], v[45:46], v[83:84], -v[41:42]
	v_mul_f64 v[27:28], v[49:50], v[33:34]
	v_mul_f64 v[41:42], v[51:52], v[33:34]
	v_readfirstlane_b32 s4, v0
	v_fma_f64 v[35:36], v[7:8], v[35:36], -v[9:10]
	v_mul_f64 v[33:34], v[55:56], v[17:18]
	v_mul_f64 v[43:44], v[53:54], v[17:18]
	v_fma_f64 v[9:10], v[73:74], v[15:16], -v[1:2]
	v_mul_lo_u32 v1, s18, v67
	v_mul_lo_u32 v2, s16, v66
	v_fma_f64 v[17:18], v[51:52], v[39:40], -v[27:28]
	v_mul_lo_u32 v27, s16, v65
	s_mov_b32 s3, 0x20000
	v_add_lshl_u32 v2, v1, v2, 4
	v_cndmask_b32_e32 v2, -1, v2, vcc
	v_add_lshl_u32 v0, v1, v27, 4
	s_mov_b32 s2, -2
	v_cndmask_b32_e32 v0, -1, v0, vcc
	buffer_store_dwordx4 v[3:6], v2, s[0:3], s4 offen
	v_mul_lo_u32 v2, s16, v68
	buffer_store_dwordx4 v[19:22], v0, s[0:3], s4 offen
	v_mul_lo_u32 v0, s16, v69
	v_fma_f64 v[7:8], v[71:72], v[15:16], v[37:38]
	v_add_lshl_u32 v2, v1, v2, 4
	v_cndmask_b32_e32 v2, -1, v2, vcc
	v_add_lshl_u32 v0, v1, v0, 4
	v_cndmask_b32_e32 v0, -1, v0, vcc
	buffer_store_dwordx4 v[29:32], v2, s[0:3], s4 offen
	v_mul_lo_u32 v2, s16, v70
	buffer_store_dwordx4 v[11:14], v0, s[0:3], s4 offen
	v_or_b32_e32 v0, 0x50, v66
	v_mul_lo_u32 v0, s16, v0
	v_add_lshl_u32 v2, v1, v2, 4
	v_fma_f64 v[15:16], v[49:50], v[39:40], v[41:42]
	v_fma_f64 v[33:34], v[53:54], v[35:36], v[33:34]
	v_fma_f64 v[35:36], v[55:56], v[35:36], -v[43:44]
	v_cndmask_b32_e32 v2, -1, v2, vcc
	v_add_lshl_u32 v0, v1, v0, 4
	buffer_store_dwordx4 v[23:26], v2, s[0:3], s4 offen
	v_or_b32_e32 v2, 0x60, v66
	v_cndmask_b32_e32 v0, -1, v0, vcc
	v_mul_lo_u32 v2, s16, v2
	buffer_store_dwordx4 v[7:10], v0, s[0:3], s4 offen
	v_mul_lo_u32 v0, s16, v87
	v_add_lshl_u32 v2, v1, v2, 4
	v_cndmask_b32_e32 v2, -1, v2, vcc
	v_add_lshl_u32 v0, v1, v0, 4
	v_cndmask_b32_e32 v0, -1, v0, vcc
	buffer_store_dwordx4 v[15:18], v2, s[0:3], s4 offen
	buffer_store_dwordx4 v[33:36], v0, s[0:3], s4 offen
	s_endpgm
	.section	.rodata,"a",@progbits
	.p2align	6, 0x0
	.amdhsa_kernel fft_rtc_back_len128_factors_16_8_wgs_256_tpt_16_dp_op_CI_CI_sbcc_twdbase6_3step_dirReg_intrinsicReadWrite
		.amdhsa_group_segment_fixed_size 0
		.amdhsa_private_segment_fixed_size 0
		.amdhsa_kernarg_size 112
		.amdhsa_user_sgpr_count 6
		.amdhsa_user_sgpr_private_segment_buffer 1
		.amdhsa_user_sgpr_dispatch_ptr 0
		.amdhsa_user_sgpr_queue_ptr 0
		.amdhsa_user_sgpr_kernarg_segment_ptr 1
		.amdhsa_user_sgpr_dispatch_id 0
		.amdhsa_user_sgpr_flat_scratch_init 0
		.amdhsa_user_sgpr_private_segment_size 0
		.amdhsa_uses_dynamic_stack 0
		.amdhsa_system_sgpr_private_segment_wavefront_offset 0
		.amdhsa_system_sgpr_workgroup_id_x 1
		.amdhsa_system_sgpr_workgroup_id_y 0
		.amdhsa_system_sgpr_workgroup_id_z 0
		.amdhsa_system_sgpr_workgroup_info 0
		.amdhsa_system_vgpr_workitem_id 0
		.amdhsa_next_free_vgpr 104
		.amdhsa_next_free_sgpr 48
		.amdhsa_reserve_vcc 1
		.amdhsa_reserve_flat_scratch 0
		.amdhsa_float_round_mode_32 0
		.amdhsa_float_round_mode_16_64 0
		.amdhsa_float_denorm_mode_32 3
		.amdhsa_float_denorm_mode_16_64 3
		.amdhsa_dx10_clamp 1
		.amdhsa_ieee_mode 1
		.amdhsa_fp16_overflow 0
		.amdhsa_exception_fp_ieee_invalid_op 0
		.amdhsa_exception_fp_denorm_src 0
		.amdhsa_exception_fp_ieee_div_zero 0
		.amdhsa_exception_fp_ieee_overflow 0
		.amdhsa_exception_fp_ieee_underflow 0
		.amdhsa_exception_fp_ieee_inexact 0
		.amdhsa_exception_int_div_zero 0
	.end_amdhsa_kernel
	.text
.Lfunc_end0:
	.size	fft_rtc_back_len128_factors_16_8_wgs_256_tpt_16_dp_op_CI_CI_sbcc_twdbase6_3step_dirReg_intrinsicReadWrite, .Lfunc_end0-fft_rtc_back_len128_factors_16_8_wgs_256_tpt_16_dp_op_CI_CI_sbcc_twdbase6_3step_dirReg_intrinsicReadWrite
                                        ; -- End function
	.section	.AMDGPU.csdata,"",@progbits
; Kernel info:
; codeLenInByte = 6172
; NumSgprs: 52
; NumVgprs: 104
; ScratchSize: 0
; MemoryBound: 0
; FloatMode: 240
; IeeeMode: 1
; LDSByteSize: 0 bytes/workgroup (compile time only)
; SGPRBlocks: 6
; VGPRBlocks: 25
; NumSGPRsForWavesPerEU: 52
; NumVGPRsForWavesPerEU: 104
; Occupancy: 2
; WaveLimiterHint : 0
; COMPUTE_PGM_RSRC2:SCRATCH_EN: 0
; COMPUTE_PGM_RSRC2:USER_SGPR: 6
; COMPUTE_PGM_RSRC2:TRAP_HANDLER: 0
; COMPUTE_PGM_RSRC2:TGID_X_EN: 1
; COMPUTE_PGM_RSRC2:TGID_Y_EN: 0
; COMPUTE_PGM_RSRC2:TGID_Z_EN: 0
; COMPUTE_PGM_RSRC2:TIDIG_COMP_CNT: 0
	.type	__hip_cuid_a199747a959ab455,@object ; @__hip_cuid_a199747a959ab455
	.section	.bss,"aw",@nobits
	.globl	__hip_cuid_a199747a959ab455
__hip_cuid_a199747a959ab455:
	.byte	0                               ; 0x0
	.size	__hip_cuid_a199747a959ab455, 1

	.ident	"AMD clang version 19.0.0git (https://github.com/RadeonOpenCompute/llvm-project roc-6.4.0 25133 c7fe45cf4b819c5991fe208aaa96edf142730f1d)"
	.section	".note.GNU-stack","",@progbits
	.addrsig
	.addrsig_sym __hip_cuid_a199747a959ab455
	.amdgpu_metadata
---
amdhsa.kernels:
  - .args:
      - .actual_access:  read_only
        .address_space:  global
        .offset:         0
        .size:           8
        .value_kind:     global_buffer
      - .address_space:  global
        .offset:         8
        .size:           8
        .value_kind:     global_buffer
      - .offset:         16
        .size:           8
        .value_kind:     by_value
      - .actual_access:  read_only
        .address_space:  global
        .offset:         24
        .size:           8
        .value_kind:     global_buffer
      - .actual_access:  read_only
        .address_space:  global
        .offset:         32
        .size:           8
        .value_kind:     global_buffer
      - .actual_access:  read_only
        .address_space:  global
        .offset:         40
        .size:           8
        .value_kind:     global_buffer
      - .offset:         48
        .size:           8
        .value_kind:     by_value
      - .actual_access:  read_only
        .address_space:  global
        .offset:         56
        .size:           8
        .value_kind:     global_buffer
      - .actual_access:  read_only
        .address_space:  global
        .offset:         64
        .size:           8
        .value_kind:     global_buffer
      - .offset:         72
        .size:           4
        .value_kind:     by_value
      - .actual_access:  read_only
        .address_space:  global
        .offset:         80
        .size:           8
        .value_kind:     global_buffer
      - .actual_access:  read_only
        .address_space:  global
        .offset:         88
        .size:           8
        .value_kind:     global_buffer
      - .address_space:  global
        .offset:         96
        .size:           8
        .value_kind:     global_buffer
      - .address_space:  global
        .offset:         104
        .size:           8
        .value_kind:     global_buffer
    .group_segment_fixed_size: 0
    .kernarg_segment_align: 8
    .kernarg_segment_size: 112
    .language:       OpenCL C
    .language_version:
      - 2
      - 0
    .max_flat_workgroup_size: 256
    .name:           fft_rtc_back_len128_factors_16_8_wgs_256_tpt_16_dp_op_CI_CI_sbcc_twdbase6_3step_dirReg_intrinsicReadWrite
    .private_segment_fixed_size: 0
    .sgpr_count:     52
    .sgpr_spill_count: 0
    .symbol:         fft_rtc_back_len128_factors_16_8_wgs_256_tpt_16_dp_op_CI_CI_sbcc_twdbase6_3step_dirReg_intrinsicReadWrite.kd
    .uniform_work_group_size: 1
    .uses_dynamic_stack: false
    .vgpr_count:     104
    .vgpr_spill_count: 0
    .wavefront_size: 64
amdhsa.target:   amdgcn-amd-amdhsa--gfx906
amdhsa.version:
  - 1
  - 2
...

	.end_amdgpu_metadata
